;; amdgpu-corpus repo=zjin-lcf/HeCBench kind=compiled arch=gfx950 opt=O3
	.amdgcn_target "amdgcn-amd-amdhsa--gfx950"
	.amdhsa_code_object_version 6
	.text
	.protected	_Z24kernel_256_winograd_BtdBPKfPf ; -- Begin function _Z24kernel_256_winograd_BtdBPKfPf
	.globl	_Z24kernel_256_winograd_BtdBPKfPf
	.p2align	8
	.type	_Z24kernel_256_winograd_BtdBPKfPf,@function
_Z24kernel_256_winograd_BtdBPKfPf:      ; @_Z24kernel_256_winograd_BtdBPKfPf
; %bb.0:
	s_load_dwordx4 s[8:11], s[0:1], 0x0
	v_bfe_u32 v6, v0, 10, 10
	v_and_b32_e32 v7, 0x3ff, v0
	s_lshl_b32 s0, s2, 14
	s_lshl_b32 s1, s3, 10
	;; [unrolled: 1-line block ×3, first 2 shown]
	v_lshlrev_b32_e32 v0, 8, v6
	v_add_u32_e32 v1, s12, v7
	s_add_i32 s0, s0, s1
	v_add3_u32 v0, v1, v0, s0
	v_ashrrev_i32_e32 v1, 31, v0
	s_waitcnt lgkmcnt(0)
	v_lshl_add_u64 v[0:1], v[0:1], 2, s[8:9]
	s_movk_i32 s0, 0x4000
	v_add_co_u32_e32 v2, vcc, s0, v0
	s_mov_b32 s0, 0x8000
	s_nop 0
	v_addc_co_u32_e32 v3, vcc, 0, v1, vcc
	v_add_co_u32_e32 v4, vcc, s0, v0
	s_mov_b32 s0, 0xc000
	s_nop 0
	v_addc_co_u32_e32 v5, vcc, 0, v1, vcc
	v_add_co_u32_e32 v8, vcc, s0, v0
	s_nop 1
	v_addc_co_u32_e32 v9, vcc, 0, v1, vcc
	v_add_co_u32_e32 v10, vcc, 0x10000, v0
	;; [unrolled: 3-line block ×3, first 2 shown]
	s_nop 1
	v_addc_co_u32_e32 v13, vcc, 0, v1, vcc
	global_load_dword v14, v[0:1], off
	global_load_dword v15, v[2:3], off
	;; [unrolled: 1-line block ×6, first 2 shown]
	v_lshl_add_u32 v8, v6, 9, 0
	v_lshl_add_u32 v0, v7, 2, v8
	v_cmp_lt_i32_e32 vcc, 2, v6
                                        ; implicit-def: $vgpr5
                                        ; implicit-def: $vgpr3
	s_waitcnt vmcnt(4)
	ds_write2st64_b32 v0, v14, v15 offset1:12
	s_waitcnt vmcnt(2)
	ds_write2st64_b32 v0, v16, v17 offset0:24 offset1:36
	s_waitcnt vmcnt(0)
	ds_write2st64_b32 v0, v18, v19 offset0:48 offset1:60
	s_waitcnt lgkmcnt(0)
	s_barrier
                                        ; implicit-def: $vgpr1
	s_and_saveexec_b64 s[0:1], vcc
	s_xor_b64 s[0:1], exec, s[0:1]
	s_cbranch_execz .LBB0_12
; %bb.1:
	v_cmp_lt_i32_e32 vcc, 3, v6
                                        ; implicit-def: $vgpr5
                                        ; implicit-def: $vgpr3
                                        ; implicit-def: $vgpr1
	s_and_saveexec_b64 s[4:5], vcc
	s_xor_b64 s[4:5], exec, s[4:5]
	s_cbranch_execz .LBB0_9
; %bb.2:
	v_cmp_lt_i32_e32 vcc, 4, v6
                                        ; implicit-def: $vgpr5
                                        ; implicit-def: $vgpr3
                                        ; implicit-def: $vgpr1
	s_and_saveexec_b64 s[6:7], vcc
	s_xor_b64 s[6:7], exec, s[6:7]
	s_cbranch_execz .LBB0_6
; %bb.3:
	v_cmp_eq_u32_e32 vcc, 5, v6
	v_mov_b32_e32 v5, 0
	v_mov_b32_e32 v4, 0
	;; [unrolled: 1-line block ×6, first 2 shown]
	s_and_saveexec_b64 s[8:9], vcc
	s_cbranch_execz .LBB0_5
; %bb.4:
	v_lshl_add_u32 v9, v7, 2, 0
	ds_read2st64_b32 v[0:1], v9 offset0:36 offset1:38
	ds_read2st64_b32 v[2:3], v9 offset0:12 offset1:14
	;; [unrolled: 1-line block ×3, first 2 shown]
	s_mov_b32 s14, 0x40a00000
	ds_read2st64_b32 v[10:11], v9 offset0:40 offset1:42
	s_waitcnt lgkmcnt(3)
	v_pk_mul_f32 v[0:1], v[0:1], s[14:15] op_sel_hi:[1,0]
	s_mov_b32 s16, 4.0
	s_waitcnt lgkmcnt(2)
	v_pk_fma_f32 v[0:1], v[2:3], 4.0, v[0:1] op_sel_hi:[1,0,1] neg_lo:[0,0,1] neg_hi:[0,0,1]
	s_mov_b32 s17, s14
	s_waitcnt lgkmcnt(1)
	v_pk_add_f32 v[0:1], v[4:5], v[0:1]
	ds_read2st64_b32 v[2:3], v9 offset0:16 offset1:18
	ds_read2st64_b32 v[4:5], v9 offset0:64 offset1:66
	;; [unrolled: 1-line block ×4, first 2 shown]
	s_waitcnt lgkmcnt(4)
	v_pk_mul_f32 v[10:11], v[10:11], s[14:15] op_sel_hi:[1,0]
	ds_read2st64_b32 v[16:17], v9 offset0:68 offset1:70
	s_waitcnt lgkmcnt(4)
	v_pk_fma_f32 v[2:3], v[2:3], 4.0, v[10:11] op_sel_hi:[1,0,1] neg_lo:[0,0,1] neg_hi:[0,0,1]
	s_waitcnt lgkmcnt(1)
	v_mul_f32_e32 v10, 0x40a00000, v14
	v_mov_b32_e32 v14, v13
	v_pk_add_f32 v[2:3], v[4:5], v[2:3]
	v_mul_f32_e32 v4, 4.0, v12
	v_pk_mul_f32 v[12:13], v[14:15], s[16:17]
	s_nop 0
	v_mov_b32_e32 v5, v12
	v_mov_b32_e32 v11, v13
	v_pk_add_f32 v[4:5], v[4:5], v[10:11] neg_lo:[0,1] neg_hi:[0,1]
	s_waitcnt lgkmcnt(0)
	v_pk_add_f32 v[4:5], v[16:17], v[4:5]
.LBB0_5:
	s_or_b64 exec, exec, s[8:9]
.LBB0_6:
	s_andn2_saveexec_b64 s[6:7], s[6:7]
	s_cbranch_execz .LBB0_8
; %bb.7:
	v_lshl_add_u32 v9, v7, 2, 0
	ds_read2st64_b32 v[0:1], v9 offset0:12 offset1:14
	ds_read2st64_b32 v[2:3], v9 offset0:24 offset1:26
	;; [unrolled: 1-line block ×5, first 2 shown]
	s_waitcnt lgkmcnt(3)
	v_pk_fma_f32 v[0:1], v[0:1], 2.0, v[2:3] op_sel_hi:[1,0,1] neg_lo:[0,0,1] neg_hi:[0,0,1]
	ds_read2st64_b32 v[2:3], v9 offset0:28 offset1:30
	s_waitcnt lgkmcnt(3)
	v_pk_fma_f32 v[0:1], v[4:5], 2.0, v[0:1] op_sel_hi:[1,0,1] neg_lo:[1,0,0] neg_hi:[1,0,0]
	s_waitcnt lgkmcnt(0)
	v_pk_fma_f32 v[2:3], v[12:13], 2.0, v[2:3] op_sel_hi:[1,0,1] neg_lo:[0,0,1] neg_hi:[0,0,1]
	v_pk_add_f32 v[0:1], v[10:11], v[0:1]
	ds_read2st64_b32 v[4:5], v9 offset0:40 offset1:42
	ds_read2st64_b32 v[10:11], v9 offset0:52 offset1:54
	;; [unrolled: 1-line block ×5, first 2 shown]
	s_waitcnt lgkmcnt(4)
	v_pk_fma_f32 v[2:3], v[4:5], 2.0, v[2:3] op_sel_hi:[1,0,1] neg_lo:[1,0,0] neg_hi:[1,0,0]
	s_waitcnt lgkmcnt(2)
	v_add_f32_e32 v4, v14, v14
	v_pk_add_f32 v[2:3], v[10:11], v[2:3]
	ds_read2st64_b32 v[10:11], v9 offset0:32 offset1:34
	s_waitcnt lgkmcnt(2)
	v_add_f32_e32 v14, v12, v12
	v_mov_b32_e32 v12, v15
	v_pk_add_f32 v[12:13], v[12:13], v[12:13]
	s_nop 0
	v_mov_b32_e32 v5, v12
	s_waitcnt lgkmcnt(0)
	v_pk_add_f32 v[4:5], v[4:5], v[10:11] neg_lo:[0,1] neg_hi:[0,1]
	v_mov_b32_e32 v15, v13
	v_pk_add_f32 v[4:5], v[4:5], v[14:15] neg_lo:[0,1] neg_hi:[0,1]
	s_nop 0
	v_pk_add_f32 v[4:5], v[16:17], v[4:5]
.LBB0_8:
	s_or_b64 exec, exec, s[6:7]
.LBB0_9:
	s_andn2_saveexec_b64 s[4:5], s[4:5]
	s_cbranch_execz .LBB0_11
; %bb.10:
	v_lshl_add_u32 v9, v7, 2, 0
	ds_read2st64_b32 v[0:1], v9 offset0:12 offset1:14
	ds_read2st64_b32 v[2:3], v9 offset0:24 offset1:26
	;; [unrolled: 1-line block ×6, first 2 shown]
	s_waitcnt lgkmcnt(4)
	v_pk_fma_f32 v[0:1], v[0:1], -2.0, v[2:3] op_sel_hi:[1,0,1] neg_lo:[0,0,1] neg_hi:[0,0,1]
	ds_read2st64_b32 v[2:3], v9 offset0:28 offset1:30
	s_waitcnt lgkmcnt(4)
	v_pk_fma_f32 v[0:1], v[4:5], 2.0, v[0:1] op_sel_hi:[1,0,1]
	ds_read2st64_b32 v[4:5], v9 offset0:40 offset1:42
	s_waitcnt lgkmcnt(4)
	v_pk_add_f32 v[0:1], v[10:11], v[0:1]
	ds_read2st64_b32 v[10:11], v9 offset0:52 offset1:54
	s_waitcnt lgkmcnt(2)
	v_pk_fma_f32 v[2:3], v[12:13], -2.0, v[2:3] op_sel_hi:[1,0,1] neg_lo:[0,0,1] neg_hi:[0,0,1]
	ds_read2st64_b32 v[12:13], v9 offset0:20 offset1:22
	s_waitcnt lgkmcnt(2)
	v_pk_fma_f32 v[2:3], v[4:5], 2.0, v[2:3] op_sel_hi:[1,0,1]
	ds_read2st64_b32 v[4:5], v9 offset0:44 offset1:46
	s_mov_b32 s6, -2.0
	s_waitcnt lgkmcnt(2)
	v_pk_add_f32 v[2:3], v[10:11], v[2:3]
	s_mov_b32 s7, 2.0
	s_waitcnt lgkmcnt(1)
	v_mul_f32_e32 v10, -2.0, v12
	s_waitcnt lgkmcnt(0)
	v_add_f32_e32 v12, v4, v4
	ds_read2st64_b32 v[16:17], v9 offset0:56 offset1:58
	v_mov_b32_e32 v4, v13
	v_pk_mul_f32 v[4:5], v[4:5], s[6:7]
	s_nop 0
	v_mov_b32_e32 v11, v4
	v_pk_add_f32 v[10:11], v[10:11], v[14:15] neg_lo:[0,1] neg_hi:[0,1]
	v_mov_b32_e32 v13, v5
	v_pk_add_f32 v[4:5], v[10:11], v[12:13]
	s_waitcnt lgkmcnt(0)
	v_pk_add_f32 v[4:5], v[16:17], v[4:5]
.LBB0_11:
	s_or_b64 exec, exec, s[4:5]
.LBB0_12:
	s_andn2_saveexec_b64 s[0:1], s[0:1]
	s_cbranch_execz .LBB0_22
; %bb.13:
	v_cmp_lt_i32_e32 vcc, 0, v6
                                        ; implicit-def: $vgpr5
                                        ; implicit-def: $vgpr3
                                        ; implicit-def: $vgpr1
	s_and_saveexec_b64 s[4:5], vcc
	s_xor_b64 s[4:5], exec, s[4:5]
	s_cbranch_execz .LBB0_19
; %bb.14:
	v_cmp_lt_i32_e32 vcc, 1, v6
                                        ; implicit-def: $vgpr5
                                        ; implicit-def: $vgpr3
                                        ; implicit-def: $vgpr1
	s_and_saveexec_b64 s[6:7], vcc
	s_xor_b64 s[6:7], exec, s[6:7]
	s_cbranch_execz .LBB0_16
; %bb.15:
	v_lshl_add_u32 v9, v7, 2, 0
	ds_read2st64_b32 v[0:1], v9 offset0:24 offset1:26
	ds_read2st64_b32 v[2:3], v9 offset0:12 offset1:14
	;; [unrolled: 1-line block ×5, first 2 shown]
	s_waitcnt lgkmcnt(4)
	v_pk_mul_f32 v[0:1], v[0:1], 4.0 op_sel_hi:[1,0]
	s_waitcnt lgkmcnt(0)
	v_pk_mul_f32 v[12:13], v[12:13], 4.0 op_sel_hi:[1,0]
	v_pk_fma_f32 v[0:1], v[2:3], 4.0, v[0:1] op_sel_hi:[1,0,1] neg_lo:[0,0,1] neg_hi:[0,0,1]
	s_nop 0
	v_pk_add_f32 v[0:1], v[0:1], v[4:5] neg_lo:[0,1] neg_hi:[0,1]
	s_nop 0
	v_pk_add_f32 v[0:1], v[10:11], v[0:1]
	ds_read2st64_b32 v[2:3], v9 offset0:16 offset1:18
	ds_read2st64_b32 v[4:5], v9 offset0:40 offset1:42
	;; [unrolled: 1-line block ×5, first 2 shown]
	s_waitcnt lgkmcnt(4)
	v_pk_fma_f32 v[2:3], v[2:3], 4.0, v[12:13] op_sel_hi:[1,0,1] neg_lo:[0,0,1] neg_hi:[0,0,1]
	s_waitcnt lgkmcnt(3)
	v_pk_add_f32 v[2:3], v[2:3], v[4:5] neg_lo:[0,1] neg_hi:[0,1]
	ds_read2st64_b32 v[12:13], v9 offset0:44 offset1:46
	ds_read2st64_b32 v[18:19], v9 offset0:56 offset1:58
	s_waitcnt lgkmcnt(4)
	v_pk_add_f32 v[2:3], v[10:11], v[2:3]
	s_waitcnt lgkmcnt(2)
	v_mul_f32_e32 v10, 4.0, v16
	v_mov_b32_e32 v16, v15
	v_mul_f32_e32 v4, 4.0, v14
	v_pk_mul_f32 v[14:15], v[16:17], 4.0 op_sel_hi:[1,0]
	s_nop 0
	v_mov_b32_e32 v5, v14
	v_mov_b32_e32 v11, v15
	v_pk_add_f32 v[4:5], v[4:5], v[10:11] neg_lo:[0,1] neg_hi:[0,1]
	s_waitcnt lgkmcnt(1)
	v_pk_add_f32 v[4:5], v[4:5], v[12:13] neg_lo:[0,1] neg_hi:[0,1]
	s_waitcnt lgkmcnt(0)
	v_pk_add_f32 v[4:5], v[18:19], v[4:5]
.LBB0_16:
	s_andn2_saveexec_b64 s[6:7], s[6:7]
	s_cbranch_execz .LBB0_18
; %bb.17:
	v_lshl_add_u32 v9, v7, 2, 0
	ds_read2st64_b32 v[0:1], v9 offset0:24 offset1:26
	ds_read2st64_b32 v[2:3], v9 offset0:12 offset1:14
	;; [unrolled: 1-line block ×5, first 2 shown]
	s_waitcnt lgkmcnt(4)
	v_pk_mul_f32 v[0:1], v[0:1], 4.0 op_sel_hi:[1,0]
	s_mov_b32 s8, -4.0
	s_waitcnt lgkmcnt(3)
	v_pk_fma_f32 v[0:1], v[2:3], -4.0, v[0:1] op_sel_hi:[1,0,1] neg_lo:[0,0,1] neg_hi:[0,0,1]
	ds_read2st64_b32 v[2:3], v9 offset0:16 offset1:18
	s_waitcnt lgkmcnt(3)
	v_pk_add_f32 v[0:1], v[4:5], v[0:1]
	s_waitcnt lgkmcnt(1)
	v_pk_mul_f32 v[12:13], v[12:13], 4.0 op_sel_hi:[1,0]
	v_pk_add_f32 v[0:1], v[10:11], v[0:1]
	ds_read2st64_b32 v[4:5], v9 offset0:40 offset1:42
	ds_read2st64_b32 v[10:11], v9 offset0:52 offset1:54
	s_waitcnt lgkmcnt(2)
	v_pk_fma_f32 v[2:3], v[2:3], -4.0, v[12:13] op_sel_hi:[1,0,1] neg_lo:[0,0,1] neg_hi:[0,0,1]
	ds_read2st64_b32 v[12:13], v9 offset0:20 offset1:22
	s_mov_b32 s9, 4.0
	s_waitcnt lgkmcnt(2)
	v_pk_add_f32 v[2:3], v[4:5], v[2:3]
	ds_read2st64_b32 v[4:5], v9 offset0:32 offset1:34
	s_waitcnt lgkmcnt(2)
	v_pk_add_f32 v[2:3], v[10:11], v[2:3]
	s_waitcnt lgkmcnt(1)
	v_mul_f32_e32 v10, -4.0, v12
	ds_read2st64_b32 v[14:15], v9 offset0:44 offset1:46
	ds_read2st64_b32 v[16:17], v9 offset0:56 offset1:58
	s_waitcnt lgkmcnt(2)
	v_mul_f32_e32 v12, 4.0, v4
	v_mov_b32_e32 v4, v13
	v_pk_mul_f32 v[4:5], v[4:5], s[8:9]
	s_nop 0
	v_mov_b32_e32 v11, v4
	v_mov_b32_e32 v13, v5
	v_pk_add_f32 v[4:5], v[10:11], v[12:13] neg_lo:[0,1] neg_hi:[0,1]
	s_waitcnt lgkmcnt(1)
	v_pk_add_f32 v[4:5], v[14:15], v[4:5]
	s_waitcnt lgkmcnt(0)
	v_pk_add_f32 v[4:5], v[16:17], v[4:5]
.LBB0_18:
	s_or_b64 exec, exec, s[6:7]
.LBB0_19:
	s_andn2_saveexec_b64 s[4:5], s[4:5]
	s_cbranch_execz .LBB0_21
; %bb.20:
	v_lshl_add_u32 v9, v7, 2, 0
	ds_read2st64_b32 v[0:1], v9 offset0:24 offset1:26
	ds_read2st64_b32 v[2:3], v9 offset1:2
	ds_read2st64_b32 v[4:5], v9 offset0:48 offset1:50
	s_mov_b32 s6, 0x40a00000
	ds_read2st64_b32 v[10:11], v9 offset0:28 offset1:30
	s_waitcnt lgkmcnt(3)
	v_pk_mul_f32 v[0:1], v[0:1], s[6:7] op_sel_hi:[1,0]
	s_mov_b32 s8, 4.0
	s_waitcnt lgkmcnt(2)
	v_pk_fma_f32 v[0:1], v[2:3], 4.0, v[0:1] op_sel_hi:[1,0,1] neg_lo:[0,0,1] neg_hi:[0,0,1]
	s_mov_b32 s9, s6
	s_waitcnt lgkmcnt(1)
	v_pk_add_f32 v[0:1], v[4:5], v[0:1]
	ds_read2st64_b32 v[2:3], v9 offset0:4 offset1:6
	ds_read2st64_b32 v[4:5], v9 offset0:52 offset1:54
	ds_read2st64_b32 v[12:13], v9 offset0:8 offset1:10
	ds_read2st64_b32 v[14:15], v9 offset0:32 offset1:34
	s_waitcnt lgkmcnt(4)
	v_pk_mul_f32 v[10:11], v[10:11], s[6:7] op_sel_hi:[1,0]
	ds_read2st64_b32 v[16:17], v9 offset0:56 offset1:58
	s_waitcnt lgkmcnt(4)
	v_pk_fma_f32 v[2:3], v[2:3], 4.0, v[10:11] op_sel_hi:[1,0,1] neg_lo:[0,0,1] neg_hi:[0,0,1]
	s_waitcnt lgkmcnt(1)
	v_mul_f32_e32 v10, 0x40a00000, v14
	v_mov_b32_e32 v14, v13
	v_pk_add_f32 v[2:3], v[4:5], v[2:3]
	v_mul_f32_e32 v4, 4.0, v12
	v_pk_mul_f32 v[12:13], v[14:15], s[8:9]
	s_nop 0
	v_mov_b32_e32 v5, v12
	v_mov_b32_e32 v11, v13
	v_pk_add_f32 v[4:5], v[4:5], v[10:11] neg_lo:[0,1] neg_hi:[0,1]
	s_waitcnt lgkmcnt(0)
	v_pk_add_f32 v[4:5], v[16:17], v[4:5]
.LBB0_21:
	s_or_b64 exec, exec, s[4:5]
.LBB0_22:
	s_or_b64 exec, exec, s[0:1]
	v_mul_u32_u24_e32 v9, 0xa00, v6
	v_lshlrev_b32_e32 v10, 2, v7
	v_add3_u32 v8, v8, v9, v10
	v_cmp_lt_i32_e32 vcc, 2, v6
	s_barrier
	ds_write2st64_b32 v8, v0, v1 offset1:2
	ds_write2st64_b32 v8, v2, v3 offset0:4 offset1:6
	ds_write2st64_b32 v8, v4, v5 offset0:8 offset1:10
	s_waitcnt lgkmcnt(0)
	s_barrier
                                        ; implicit-def: $vgpr5
                                        ; implicit-def: $vgpr3
                                        ; implicit-def: $vgpr1
	s_and_saveexec_b64 s[0:1], vcc
	s_xor_b64 s[0:1], exec, s[0:1]
	s_cbranch_execz .LBB0_34
; %bb.23:
	v_cmp_lt_i32_e32 vcc, 3, v6
                                        ; implicit-def: $vgpr5
                                        ; implicit-def: $vgpr3
                                        ; implicit-def: $vgpr1
	s_and_saveexec_b64 s[4:5], vcc
	s_xor_b64 s[4:5], exec, s[4:5]
	s_cbranch_execz .LBB0_31
; %bb.24:
	v_cmp_lt_i32_e32 vcc, 4, v6
                                        ; implicit-def: $vgpr5
                                        ; implicit-def: $vgpr3
                                        ; implicit-def: $vgpr1
	s_and_saveexec_b64 s[6:7], vcc
	s_xor_b64 s[6:7], exec, s[6:7]
	s_cbranch_execz .LBB0_28
; %bb.25:
	v_cmp_eq_u32_e32 vcc, 5, v6
	v_mov_b32_e32 v5, 0
	v_mov_b32_e32 v4, 0
	;; [unrolled: 1-line block ×6, first 2 shown]
	s_and_saveexec_b64 s[8:9], vcc
	s_cbranch_execz .LBB0_27
; %bb.26:
	v_lshl_add_u32 v12, v7, 2, 0
	ds_read2st64_b32 v[0:1], v12 offset0:2 offset1:6
	ds_read2st64_b32 v[2:3], v12 offset0:10 offset1:14
	;; [unrolled: 1-line block ×3, first 2 shown]
	s_mov_b32 s14, 0x40a00000
	s_mov_b32 s16, 4.0
	s_waitcnt lgkmcnt(2)
	v_mov_b32_e32 v8, v0
	v_mov_b32_e32 v0, v1
	s_waitcnt lgkmcnt(0)
	v_mov_b32_e32 v1, v4
	v_mov_b32_e32 v9, v3
	v_pk_mul_f32 v[0:1], v[0:1], s[14:15] op_sel_hi:[1,0]
	v_mov_b32_e32 v3, v5
	v_pk_fma_f32 v[0:1], v[8:9], 4.0, v[0:1] op_sel_hi:[1,0,1] neg_lo:[0,0,1] neg_hi:[0,0,1]
	ds_read2st64_b32 v[8:9], v12 offset0:26 offset1:30
	ds_read2st64_b32 v[10:11], v12 offset0:34 offset1:38
	;; [unrolled: 1-line block ×3, first 2 shown]
	v_pk_add_f32 v[0:1], v[2:3], v[0:1]
	s_mov_b32 s17, s14
	s_waitcnt lgkmcnt(2)
	v_mov_b32_e32 v2, v8
	v_mov_b32_e32 v8, v9
	s_waitcnt lgkmcnt(0)
	v_mov_b32_e32 v9, v4
	v_mov_b32_e32 v3, v11
	v_pk_mul_f32 v[8:9], v[8:9], s[14:15] op_sel_hi:[1,0]
	v_mov_b32_e32 v11, v5
	v_pk_fma_f32 v[2:3], v[2:3], 4.0, v[8:9] op_sel_hi:[1,0,1] neg_lo:[0,0,1] neg_hi:[0,0,1]
	ds_read2st64_b32 v[4:5], v12 offset0:50 offset1:54
	v_pk_add_f32 v[2:3], v[10:11], v[2:3]
	ds_read2st64_b32 v[8:9], v12 offset0:58 offset1:62
	ds_read2st64_b32 v[10:11], v12 offset0:66 offset1:70
	s_waitcnt lgkmcnt(2)
	v_mul_f32_e32 v4, 4.0, v4
	s_waitcnt lgkmcnt(1)
	v_mov_b32_e32 v14, v9
	s_waitcnt lgkmcnt(0)
	v_mov_b32_e32 v15, v10
	v_pk_mul_f32 v[14:15], v[14:15], s[16:17]
	v_mul_f32_e32 v12, 0x40a00000, v5
	v_mov_b32_e32 v5, v14
	v_mov_b32_e32 v13, v15
	v_pk_add_f32 v[4:5], v[4:5], v[12:13] neg_lo:[0,1] neg_hi:[0,1]
	v_mov_b32_e32 v9, v11
	v_pk_add_f32 v[4:5], v[8:9], v[4:5]
.LBB0_27:
	s_or_b64 exec, exec, s[8:9]
.LBB0_28:
	s_andn2_saveexec_b64 s[6:7], s[6:7]
	s_cbranch_execz .LBB0_30
; %bb.29:
	v_lshl_add_u32 v14, v7, 2, 0
	ds_read2st64_b32 v[0:1], v14 offset0:2 offset1:4
	ds_read2st64_b32 v[2:3], v14 offset0:14 offset1:16
	;; [unrolled: 1-line block ×4, first 2 shown]
	s_waitcnt lgkmcnt(3)
	v_mov_b32_e32 v10, v0
	s_waitcnt lgkmcnt(2)
	v_mov_b32_e32 v11, v2
	v_mov_b32_e32 v2, v1
	v_pk_fma_f32 v[0:1], v[10:11], 2.0, v[2:3] op_sel_hi:[1,0,1] neg_lo:[0,0,1] neg_hi:[0,0,1]
	s_waitcnt lgkmcnt(1)
	v_mov_b32_e32 v2, v4
	s_waitcnt lgkmcnt(0)
	v_mov_b32_e32 v3, v8
	v_pk_fma_f32 v[0:1], v[2:3], 2.0, v[0:1] op_sel_hi:[1,0,1] neg_lo:[1,0,0] neg_hi:[1,0,0]
	v_mov_b32_e32 v8, v5
	ds_read2st64_b32 v[2:3], v14 offset0:26 offset1:28
	ds_read2st64_b32 v[4:5], v14 offset0:38 offset1:40
	v_pk_add_f32 v[0:1], v[8:9], v[0:1]
	ds_read2st64_b32 v[8:9], v14 offset0:30 offset1:32
	ds_read2st64_b32 v[10:11], v14 offset0:42 offset1:44
	s_waitcnt lgkmcnt(3)
	v_mov_b32_e32 v12, v2
	s_waitcnt lgkmcnt(2)
	v_mov_b32_e32 v13, v4
	v_mov_b32_e32 v4, v3
	v_pk_fma_f32 v[2:3], v[12:13], 2.0, v[4:5] op_sel_hi:[1,0,1] neg_lo:[0,0,1] neg_hi:[0,0,1]
	s_waitcnt lgkmcnt(1)
	v_mov_b32_e32 v4, v8
	s_waitcnt lgkmcnt(0)
	v_mov_b32_e32 v5, v10
	v_pk_fma_f32 v[2:3], v[4:5], 2.0, v[2:3] op_sel_hi:[1,0,1] neg_lo:[1,0,0] neg_hi:[1,0,0]
	v_mov_b32_e32 v10, v9
	ds_read2st64_b32 v[4:5], v14 offset0:50 offset1:52
	ds_read2st64_b32 v[8:9], v14 offset0:54 offset1:56
	;; [unrolled: 1-line block ×4, first 2 shown]
	v_pk_add_f32 v[2:3], v[10:11], v[2:3]
	s_waitcnt lgkmcnt(3)
	v_add_f32_e32 v10, v4, v4
	s_waitcnt lgkmcnt(2)
	v_add_f32_e32 v4, v8, v8
	s_waitcnt lgkmcnt(1)
	v_mov_b32_e32 v16, v12
	s_waitcnt lgkmcnt(0)
	v_mov_b32_e32 v17, v14
	v_pk_add_f32 v[16:17], v[16:17], v[16:17]
	v_mov_b32_e32 v12, v5
	v_mov_b32_e32 v11, v16
	v_pk_add_f32 v[10:11], v[10:11], v[12:13] neg_lo:[0,1] neg_hi:[0,1]
	v_mov_b32_e32 v5, v17
	v_pk_add_f32 v[4:5], v[10:11], v[4:5] neg_lo:[0,1] neg_hi:[0,1]
	v_mov_b32_e32 v14, v9
	v_pk_add_f32 v[4:5], v[14:15], v[4:5]
.LBB0_30:
	s_or_b64 exec, exec, s[6:7]
.LBB0_31:
	s_andn2_saveexec_b64 s[4:5], s[4:5]
	s_cbranch_execz .LBB0_33
; %bb.32:
	v_lshl_add_u32 v14, v7, 2, 0
	ds_read2st64_b32 v[0:1], v14 offset0:2 offset1:4
	ds_read2st64_b32 v[2:3], v14 offset0:14 offset1:16
	;; [unrolled: 1-line block ×4, first 2 shown]
	s_mov_b32 s6, -2.0
	s_waitcnt lgkmcnt(3)
	v_mov_b32_e32 v10, v0
	s_waitcnt lgkmcnt(2)
	v_mov_b32_e32 v11, v2
	v_mov_b32_e32 v2, v1
	v_pk_fma_f32 v[0:1], v[10:11], -2.0, v[2:3] op_sel_hi:[1,0,1] neg_lo:[0,0,1] neg_hi:[0,0,1]
	s_waitcnt lgkmcnt(1)
	v_mov_b32_e32 v2, v4
	s_waitcnt lgkmcnt(0)
	v_mov_b32_e32 v3, v8
	v_pk_fma_f32 v[0:1], v[2:3], 2.0, v[0:1] op_sel_hi:[1,0,1]
	v_mov_b32_e32 v8, v5
	ds_read2st64_b32 v[2:3], v14 offset0:26 offset1:28
	ds_read2st64_b32 v[4:5], v14 offset0:38 offset1:40
	v_pk_add_f32 v[0:1], v[8:9], v[0:1]
	ds_read2st64_b32 v[8:9], v14 offset0:30 offset1:32
	ds_read2st64_b32 v[10:11], v14 offset0:42 offset1:44
	s_mov_b32 s7, 2.0
	s_waitcnt lgkmcnt(3)
	v_mov_b32_e32 v12, v2
	s_waitcnt lgkmcnt(2)
	v_mov_b32_e32 v13, v4
	v_mov_b32_e32 v4, v3
	v_pk_fma_f32 v[2:3], v[12:13], -2.0, v[4:5] op_sel_hi:[1,0,1] neg_lo:[0,0,1] neg_hi:[0,0,1]
	s_waitcnt lgkmcnt(1)
	v_mov_b32_e32 v4, v8
	s_waitcnt lgkmcnt(0)
	v_mov_b32_e32 v5, v10
	v_pk_fma_f32 v[2:3], v[4:5], 2.0, v[2:3] op_sel_hi:[1,0,1]
	v_mov_b32_e32 v10, v9
	v_pk_add_f32 v[2:3], v[10:11], v[2:3]
	ds_read2st64_b32 v[4:5], v14 offset0:50 offset1:52
	ds_read2st64_b32 v[8:9], v14 offset0:54 offset1:56
	;; [unrolled: 1-line block ×4, first 2 shown]
	s_waitcnt lgkmcnt(3)
	v_mul_f32_e32 v14, -2.0, v4
	s_waitcnt lgkmcnt(2)
	v_add_f32_e32 v4, v8, v8
	s_waitcnt lgkmcnt(1)
	v_mov_b32_e32 v16, v10
	s_waitcnt lgkmcnt(0)
	v_mov_b32_e32 v17, v12
	v_pk_mul_f32 v[16:17], v[16:17], s[6:7]
	v_mov_b32_e32 v10, v5
	v_mov_b32_e32 v15, v16
	v_pk_add_f32 v[10:11], v[14:15], v[10:11] neg_lo:[0,1] neg_hi:[0,1]
	v_mov_b32_e32 v5, v17
	v_pk_add_f32 v[4:5], v[10:11], v[4:5]
	v_mov_b32_e32 v12, v9
	v_pk_add_f32 v[4:5], v[12:13], v[4:5]
.LBB0_33:
	s_or_b64 exec, exec, s[4:5]
.LBB0_34:
	s_andn2_saveexec_b64 s[0:1], s[0:1]
	s_cbranch_execz .LBB0_44
; %bb.35:
	v_cmp_lt_i32_e32 vcc, 0, v6
                                        ; implicit-def: $vgpr5
                                        ; implicit-def: $vgpr3
                                        ; implicit-def: $vgpr1
	s_and_saveexec_b64 s[4:5], vcc
	s_xor_b64 s[4:5], exec, s[4:5]
	s_cbranch_execz .LBB0_41
; %bb.36:
	v_cmp_lt_i32_e32 vcc, 1, v6
                                        ; implicit-def: $vgpr5
                                        ; implicit-def: $vgpr3
                                        ; implicit-def: $vgpr1
	s_and_saveexec_b64 s[6:7], vcc
	s_xor_b64 s[6:7], exec, s[6:7]
	s_cbranch_execz .LBB0_38
; %bb.37:
	v_lshl_add_u32 v14, v7, 2, 0
	ds_read2st64_b32 v[0:1], v14 offset0:2 offset1:4
	ds_read2st64_b32 v[2:3], v14 offset0:14 offset1:16
	;; [unrolled: 1-line block ×4, first 2 shown]
	s_waitcnt lgkmcnt(3)
	v_mov_b32_e32 v10, v0
	s_waitcnt lgkmcnt(2)
	v_mov_b32_e32 v11, v2
	v_mov_b32_e32 v2, v1
	v_pk_mul_f32 v[0:1], v[2:3], 4.0 op_sel_hi:[1,0]
	s_waitcnt lgkmcnt(1)
	v_mov_b32_e32 v2, v4
	v_pk_fma_f32 v[0:1], v[10:11], 4.0, v[0:1] op_sel_hi:[1,0,1] neg_lo:[0,0,1] neg_hi:[0,0,1]
	s_waitcnt lgkmcnt(0)
	v_mov_b32_e32 v3, v8
	v_pk_add_f32 v[0:1], v[0:1], v[2:3] neg_lo:[0,1] neg_hi:[0,1]
	v_mov_b32_e32 v8, v5
	ds_read2st64_b32 v[2:3], v14 offset0:26 offset1:28
	ds_read2st64_b32 v[4:5], v14 offset0:38 offset1:40
	v_pk_add_f32 v[0:1], v[8:9], v[0:1]
	ds_read2st64_b32 v[8:9], v14 offset0:30 offset1:32
	ds_read2st64_b32 v[10:11], v14 offset0:42 offset1:44
	s_waitcnt lgkmcnt(3)
	v_mov_b32_e32 v12, v2
	s_waitcnt lgkmcnt(2)
	v_mov_b32_e32 v13, v4
	v_mov_b32_e32 v4, v3
	v_pk_mul_f32 v[2:3], v[4:5], 4.0 op_sel_hi:[1,0]
	s_waitcnt lgkmcnt(1)
	v_mov_b32_e32 v4, v8
	v_pk_fma_f32 v[2:3], v[12:13], 4.0, v[2:3] op_sel_hi:[1,0,1] neg_lo:[0,0,1] neg_hi:[0,0,1]
	ds_read2st64_b32 v[12:13], v14 offset0:50 offset1:52
	s_waitcnt lgkmcnt(1)
	v_mov_b32_e32 v5, v10
	v_pk_add_f32 v[2:3], v[2:3], v[4:5] neg_lo:[0,1] neg_hi:[0,1]
	ds_read2st64_b32 v[4:5], v14 offset0:62 offset1:64
	v_mov_b32_e32 v10, v9
	v_pk_add_f32 v[2:3], v[10:11], v[2:3]
	s_waitcnt lgkmcnt(1)
	v_mul_f32_e32 v8, 4.0, v12
	v_mul_f32_e32 v10, 4.0, v13
	ds_read2st64_b32 v[12:13], v14 offset0:54 offset1:56
	ds_read2st64_b32 v[14:15], v14 offset0:66 offset1:68
	s_waitcnt lgkmcnt(2)
	v_pk_mul_f32 v[4:5], v[4:5], 4.0 op_sel_hi:[1,0]
	s_nop 0
	v_mov_b32_e32 v9, v4
	v_mov_b32_e32 v11, v5
	v_pk_add_f32 v[4:5], v[8:9], v[10:11] neg_lo:[0,1] neg_hi:[0,1]
	s_waitcnt lgkmcnt(1)
	v_mov_b32_e32 v8, v12
	s_waitcnt lgkmcnt(0)
	v_mov_b32_e32 v9, v14
	v_pk_add_f32 v[4:5], v[4:5], v[8:9] neg_lo:[0,1] neg_hi:[0,1]
	v_mov_b32_e32 v14, v13
	v_pk_add_f32 v[4:5], v[14:15], v[4:5]
.LBB0_38:
	s_andn2_saveexec_b64 s[6:7], s[6:7]
	s_cbranch_execz .LBB0_40
; %bb.39:
	v_lshl_add_u32 v14, v7, 2, 0
	ds_read2st64_b32 v[0:1], v14 offset0:2 offset1:4
	ds_read2st64_b32 v[2:3], v14 offset0:14 offset1:16
	;; [unrolled: 1-line block ×4, first 2 shown]
	s_mov_b32 s8, -4.0
	s_waitcnt lgkmcnt(3)
	v_mov_b32_e32 v10, v0
	s_waitcnt lgkmcnt(2)
	v_mov_b32_e32 v11, v2
	v_mov_b32_e32 v2, v1
	v_pk_mul_f32 v[0:1], v[2:3], 4.0 op_sel_hi:[1,0]
	s_waitcnt lgkmcnt(1)
	v_mov_b32_e32 v2, v4
	v_pk_fma_f32 v[0:1], v[10:11], -4.0, v[0:1] op_sel_hi:[1,0,1] neg_lo:[0,0,1] neg_hi:[0,0,1]
	s_waitcnt lgkmcnt(0)
	v_mov_b32_e32 v3, v8
	v_pk_add_f32 v[0:1], v[2:3], v[0:1]
	v_mov_b32_e32 v8, v5
	ds_read2st64_b32 v[2:3], v14 offset0:26 offset1:28
	ds_read2st64_b32 v[4:5], v14 offset0:38 offset1:40
	v_pk_add_f32 v[0:1], v[8:9], v[0:1]
	ds_read2st64_b32 v[8:9], v14 offset0:30 offset1:32
	ds_read2st64_b32 v[10:11], v14 offset0:42 offset1:44
	s_mov_b32 s9, 4.0
	s_waitcnt lgkmcnt(3)
	v_mov_b32_e32 v12, v2
	s_waitcnt lgkmcnt(2)
	v_mov_b32_e32 v13, v4
	v_mov_b32_e32 v4, v3
	v_pk_mul_f32 v[2:3], v[4:5], 4.0 op_sel_hi:[1,0]
	s_waitcnt lgkmcnt(1)
	v_mov_b32_e32 v4, v8
	v_pk_fma_f32 v[2:3], v[12:13], -4.0, v[2:3] op_sel_hi:[1,0,1] neg_lo:[0,0,1] neg_hi:[0,0,1]
	s_waitcnt lgkmcnt(0)
	v_mov_b32_e32 v5, v10
	v_mov_b32_e32 v10, v9
	ds_read2st64_b32 v[8:9], v14 offset0:62 offset1:64
	v_pk_add_f32 v[2:3], v[4:5], v[2:3]
	ds_read2st64_b32 v[4:5], v14 offset0:50 offset1:52
	ds_read2st64_b32 v[12:13], v14 offset0:54 offset1:56
	;; [unrolled: 1-line block ×3, first 2 shown]
	s_waitcnt lgkmcnt(3)
	v_pk_mul_f32 v[8:9], v[8:9], s[8:9]
	v_pk_add_f32 v[2:3], v[10:11], v[2:3]
	s_waitcnt lgkmcnt(2)
	v_mul_f32_e32 v4, -4.0, v4
	v_mul_f32_e32 v10, 4.0, v5
	v_mov_b32_e32 v5, v8
	v_mov_b32_e32 v11, v9
	v_pk_add_f32 v[4:5], v[4:5], v[10:11] neg_lo:[0,1] neg_hi:[0,1]
	s_waitcnt lgkmcnt(1)
	v_mov_b32_e32 v8, v12
	s_waitcnt lgkmcnt(0)
	v_mov_b32_e32 v9, v14
	v_pk_add_f32 v[4:5], v[8:9], v[4:5]
	v_mov_b32_e32 v14, v13
	v_pk_add_f32 v[4:5], v[14:15], v[4:5]
.LBB0_40:
	s_or_b64 exec, exec, s[6:7]
.LBB0_41:
	s_andn2_saveexec_b64 s[4:5], s[4:5]
	s_cbranch_execz .LBB0_43
; %bb.42:
	v_lshl_add_u32 v12, v7, 2, 0
	ds_read2st64_b32 v[0:1], v12 offset1:4
	ds_read2st64_b32 v[2:3], v12 offset0:8 offset1:12
	ds_read2st64_b32 v[4:5], v12 offset0:16 offset1:20
	s_mov_b32 s6, 0x40a00000
	s_mov_b32 s8, 4.0
	s_waitcnt lgkmcnt(2)
	v_mov_b32_e32 v8, v0
	v_mov_b32_e32 v0, v1
	s_waitcnt lgkmcnt(0)
	v_mov_b32_e32 v1, v4
	v_mov_b32_e32 v9, v3
	v_pk_mul_f32 v[0:1], v[0:1], s[6:7] op_sel_hi:[1,0]
	v_mov_b32_e32 v3, v5
	v_pk_fma_f32 v[0:1], v[8:9], 4.0, v[0:1] op_sel_hi:[1,0,1] neg_lo:[0,0,1] neg_hi:[0,0,1]
	ds_read2st64_b32 v[8:9], v12 offset0:24 offset1:28
	ds_read2st64_b32 v[10:11], v12 offset0:32 offset1:36
	;; [unrolled: 1-line block ×3, first 2 shown]
	v_pk_add_f32 v[0:1], v[2:3], v[0:1]
	s_mov_b32 s9, s6
	s_waitcnt lgkmcnt(2)
	v_mov_b32_e32 v2, v8
	v_mov_b32_e32 v8, v9
	s_waitcnt lgkmcnt(0)
	v_mov_b32_e32 v9, v4
	v_mov_b32_e32 v3, v11
	v_pk_mul_f32 v[8:9], v[8:9], s[6:7] op_sel_hi:[1,0]
	v_mov_b32_e32 v11, v5
	v_pk_fma_f32 v[2:3], v[2:3], 4.0, v[8:9] op_sel_hi:[1,0,1] neg_lo:[0,0,1] neg_hi:[0,0,1]
	ds_read2st64_b32 v[4:5], v12 offset0:48 offset1:52
	v_pk_add_f32 v[2:3], v[10:11], v[2:3]
	ds_read2st64_b32 v[8:9], v12 offset0:56 offset1:60
	ds_read2st64_b32 v[10:11], v12 offset0:64 offset1:68
	s_waitcnt lgkmcnt(2)
	v_mul_f32_e32 v4, 4.0, v4
	s_waitcnt lgkmcnt(1)
	v_mov_b32_e32 v14, v9
	s_waitcnt lgkmcnt(0)
	v_mov_b32_e32 v15, v10
	v_pk_mul_f32 v[14:15], v[14:15], s[8:9]
	v_mul_f32_e32 v12, 0x40a00000, v5
	v_mov_b32_e32 v5, v14
	v_mov_b32_e32 v13, v15
	v_pk_add_f32 v[4:5], v[4:5], v[12:13] neg_lo:[0,1] neg_hi:[0,1]
	v_mov_b32_e32 v9, v11
	v_pk_add_f32 v[4:5], v[8:9], v[4:5]
.LBB0_43:
	s_or_b64 exec, exec, s[4:5]
.LBB0_44:
	s_or_b64 exec, exec, s[0:1]
	s_lshl_b32 s0, s2, 10
	s_lshl_b32 s1, s3, 8
	s_add_i32 s0, s12, s0
	s_add_i32 s0, s0, s1
	v_lshlrev_b32_e32 v6, 12, v6
	v_add3_u32 v6, s0, v7, v6
	v_mov_b32_e32 v7, 0
	v_lshl_add_u64 v[8:9], v[6:7], 2, s[10:11]
	s_barrier
	global_store_dword v[8:9], v0, off
	v_add_u32_e32 v8, 0x6000, v6
	v_mov_b32_e32 v9, v7
	v_lshl_add_u64 v[8:9], v[8:9], 2, s[10:11]
	global_store_dword v[8:9], v1, off
	v_add_u32_e32 v0, 0xc000, v6
	v_mov_b32_e32 v1, v7
	v_lshl_add_u64 v[0:1], v[0:1], 2, s[10:11]
	;; [unrolled: 4-line block ×4, first 2 shown]
	v_add_u32_e32 v6, 0x1e000, v6
	global_store_dword v[0:1], v4, off
	v_lshl_add_u64 v[0:1], v[6:7], 2, s[10:11]
	global_store_dword v[0:1], v5, off
	s_endpgm
	.section	.rodata,"a",@progbits
	.p2align	6, 0x0
	.amdhsa_kernel _Z24kernel_256_winograd_BtdBPKfPf
		.amdhsa_group_segment_fixed_size 0
		.amdhsa_private_segment_fixed_size 0
		.amdhsa_kernarg_size 16
		.amdhsa_user_sgpr_count 2
		.amdhsa_user_sgpr_dispatch_ptr 0
		.amdhsa_user_sgpr_queue_ptr 0
		.amdhsa_user_sgpr_kernarg_segment_ptr 1
		.amdhsa_user_sgpr_dispatch_id 0
		.amdhsa_user_sgpr_kernarg_preload_length 0
		.amdhsa_user_sgpr_kernarg_preload_offset 0
		.amdhsa_user_sgpr_private_segment_size 0
		.amdhsa_uses_dynamic_stack 0
		.amdhsa_enable_private_segment 0
		.amdhsa_system_sgpr_workgroup_id_x 1
		.amdhsa_system_sgpr_workgroup_id_y 1
		.amdhsa_system_sgpr_workgroup_id_z 1
		.amdhsa_system_sgpr_workgroup_info 0
		.amdhsa_system_vgpr_workitem_id 1
		.amdhsa_next_free_vgpr 20
		.amdhsa_next_free_sgpr 18
		.amdhsa_accum_offset 20
		.amdhsa_reserve_vcc 1
		.amdhsa_float_round_mode_32 0
		.amdhsa_float_round_mode_16_64 0
		.amdhsa_float_denorm_mode_32 3
		.amdhsa_float_denorm_mode_16_64 3
		.amdhsa_dx10_clamp 1
		.amdhsa_ieee_mode 1
		.amdhsa_fp16_overflow 0
		.amdhsa_tg_split 0
		.amdhsa_exception_fp_ieee_invalid_op 0
		.amdhsa_exception_fp_denorm_src 0
		.amdhsa_exception_fp_ieee_div_zero 0
		.amdhsa_exception_fp_ieee_overflow 0
		.amdhsa_exception_fp_ieee_underflow 0
		.amdhsa_exception_fp_ieee_inexact 0
		.amdhsa_exception_int_div_zero 0
	.end_amdhsa_kernel
	.text
.Lfunc_end0:
	.size	_Z24kernel_256_winograd_BtdBPKfPf, .Lfunc_end0-_Z24kernel_256_winograd_BtdBPKfPf
                                        ; -- End function
	.set _Z24kernel_256_winograd_BtdBPKfPf.num_vgpr, 20
	.set _Z24kernel_256_winograd_BtdBPKfPf.num_agpr, 0
	.set _Z24kernel_256_winograd_BtdBPKfPf.numbered_sgpr, 18
	.set _Z24kernel_256_winograd_BtdBPKfPf.num_named_barrier, 0
	.set _Z24kernel_256_winograd_BtdBPKfPf.private_seg_size, 0
	.set _Z24kernel_256_winograd_BtdBPKfPf.uses_vcc, 1
	.set _Z24kernel_256_winograd_BtdBPKfPf.uses_flat_scratch, 0
	.set _Z24kernel_256_winograd_BtdBPKfPf.has_dyn_sized_stack, 0
	.set _Z24kernel_256_winograd_BtdBPKfPf.has_recursion, 0
	.set _Z24kernel_256_winograd_BtdBPKfPf.has_indirect_call, 0
	.section	.AMDGPU.csdata,"",@progbits
; Kernel info:
; codeLenInByte = 4184
; TotalNumSgprs: 24
; NumVgprs: 20
; NumAgprs: 0
; TotalNumVgprs: 20
; ScratchSize: 0
; MemoryBound: 0
; FloatMode: 240
; IeeeMode: 1
; LDSByteSize: 0 bytes/workgroup (compile time only)
; SGPRBlocks: 2
; VGPRBlocks: 2
; NumSGPRsForWavesPerEU: 24
; NumVGPRsForWavesPerEU: 20
; AccumOffset: 20
; Occupancy: 8
; WaveLimiterHint : 1
; COMPUTE_PGM_RSRC2:SCRATCH_EN: 0
; COMPUTE_PGM_RSRC2:USER_SGPR: 2
; COMPUTE_PGM_RSRC2:TRAP_HANDLER: 0
; COMPUTE_PGM_RSRC2:TGID_X_EN: 1
; COMPUTE_PGM_RSRC2:TGID_Y_EN: 1
; COMPUTE_PGM_RSRC2:TGID_Z_EN: 1
; COMPUTE_PGM_RSRC2:TIDIG_COMP_CNT: 1
; COMPUTE_PGM_RSRC3_GFX90A:ACCUM_OFFSET: 4
; COMPUTE_PGM_RSRC3_GFX90A:TG_SPLIT: 0
	.text
	.protected	_Z24kernel_256_winograd_AtIAPKfS0_S0_Pf ; -- Begin function _Z24kernel_256_winograd_AtIAPKfS0_S0_Pf
	.globl	_Z24kernel_256_winograd_AtIAPKfS0_S0_Pf
	.p2align	8
	.type	_Z24kernel_256_winograd_AtIAPKfS0_S0_Pf,@function
_Z24kernel_256_winograd_AtIAPKfS0_S0_Pf: ; @_Z24kernel_256_winograd_AtIAPKfS0_S0_Pf
; %bb.0:
	s_load_dwordx8 s[8:15], s[0:1], 0x0
	s_lshl_b32 s1, s3, 8
	v_and_b32_e32 v1, 0x3ff, v0
	v_bfe_u32 v2, v0, 10, 10
	s_lshl_b32 s0, s2, 10
	s_add_i32 s1, s1, s4
	v_mad_u32_u24 v3, v1, 6, v2
	s_add_i32 s1, s1, s0
	v_lshl_add_u32 v4, v3, 12, s1
	v_ashrrev_i32_e32 v5, 31, v4
	s_waitcnt lgkmcnt(0)
	v_lshl_add_u64 v[4:5], v[4:5], 2, s[8:9]
	global_load_dword v6, v[4:5], off
	s_ashr_i32 s5, s4, 31
	s_lshl_b64 s[0:1], s[4:5], 2
	s_add_u32 s6, s10, s0
	s_addc_u32 s7, s11, s1
	s_add_u32 s0, s12, s0
	s_addc_u32 s1, s13, s1
	s_load_dword s5, s[6:7], 0x0
	v_mov_b32_e32 v7, 0
	s_load_dword s0, s[0:1], 0x0
	v_mul_u32_u24_e32 v0, 6, v1
	v_lshl_add_u32 v3, v3, 2, 8
	s_waitcnt lgkmcnt(0)
	v_mov_b32_e32 v4, s5
	v_cmp_lt_i32_e32 vcc, 1, v1
	v_mov_b32_e32 v5, s0
	ds_write_b64 v7, v[4:5]
	s_waitcnt vmcnt(0)
	ds_write_b32 v3, v6
	s_waitcnt lgkmcnt(0)
	s_barrier
                                        ; implicit-def: $vgpr4
	s_and_saveexec_b64 s[0:1], vcc
	s_xor_b64 s[0:1], exec, s[0:1]
	s_cbranch_execz .LBB1_8
; %bb.1:
	v_cmp_lt_i32_e32 vcc, 2, v1
                                        ; implicit-def: $vgpr4
	s_and_saveexec_b64 s[6:7], vcc
	s_xor_b64 s[6:7], exec, s[6:7]
	s_cbranch_execz .LBB1_5
; %bb.2:
	v_cmp_eq_u32_e32 vcc, 3, v1
	v_mov_b32_e32 v4, 0
	s_and_saveexec_b64 s[8:9], vcc
	s_cbranch_execz .LBB1_4
; %bb.3:
	v_lshl_add_u32 v8, v2, 2, 8
	ds_read2_b32 v[4:5], v8 offset0:6 offset1:12
	ds_read2_b32 v[6:7], v8 offset0:18 offset1:24
	ds_read_b32 v8, v8 offset:120
	s_mov_b32 s10, 0x41000000
	s_waitcnt lgkmcnt(2)
	v_sub_f32_e32 v9, v4, v5
	s_waitcnt lgkmcnt(1)
	v_pk_mul_f32 v[4:5], v[6:7], s[10:11] op_sel_hi:[1,0]
	s_nop 0
	v_add_f32_e32 v4, v9, v4
	v_sub_f32_e32 v4, v4, v5
	s_waitcnt lgkmcnt(0)
	v_add_f32_e32 v4, v8, v4
.LBB1_4:
	s_or_b64 exec, exec, s[8:9]
.LBB1_5:
	s_andn2_saveexec_b64 s[6:7], s[6:7]
	s_cbranch_execz .LBB1_7
; %bb.6:
	v_lshl_add_u32 v6, v2, 2, 8
	ds_read2_b32 v[4:5], v6 offset0:6 offset1:12
	ds_read2_b32 v[6:7], v6 offset0:18 offset1:24
	s_waitcnt lgkmcnt(1)
	v_add_f32_e32 v8, v4, v5
	s_waitcnt lgkmcnt(0)
	v_pk_mul_f32 v[4:5], v[6:7], 4.0 op_sel_hi:[1,0]
	s_nop 0
	v_add_f32_e32 v4, v8, v4
	v_add_f32_e32 v4, v4, v5
.LBB1_7:
	s_or_b64 exec, exec, s[6:7]
.LBB1_8:
	s_andn2_saveexec_b64 s[0:1], s[0:1]
	s_cbranch_execz .LBB1_14
; %bb.9:
	v_cmp_lt_i32_e32 vcc, 0, v1
	v_lshl_add_u32 v5, v2, 2, 8
                                        ; implicit-def: $vgpr4
	s_and_saveexec_b64 s[6:7], vcc
	s_xor_b64 s[6:7], exec, s[6:7]
	s_cbranch_execz .LBB1_11
; %bb.10:
	ds_read2_b32 v[6:7], v5 offset0:6 offset1:12
	ds_read2_b32 v[4:5], v5 offset0:18 offset1:24
	s_waitcnt lgkmcnt(1)
	v_sub_f32_e32 v6, v6, v7
	s_waitcnt lgkmcnt(0)
	v_pk_add_f32 v[4:5], v[4:5], v[4:5]
	s_nop 0
	v_add_f32_e32 v4, v6, v4
	v_sub_f32_e32 v4, v4, v5
                                        ; implicit-def: $vgpr5
.LBB1_11:
	s_andn2_saveexec_b64 s[6:7], s[6:7]
	s_cbranch_execz .LBB1_13
; %bb.12:
	ds_read2_b32 v[6:7], v5 offset1:6
	ds_read2_b32 v[8:9], v5 offset0:12 offset1:18
	ds_read_b32 v4, v5 offset:96
	s_waitcnt lgkmcnt(2)
	v_add_f32_e32 v5, v6, v7
	s_waitcnt lgkmcnt(1)
	v_add_f32_e32 v5, v5, v8
	v_add_f32_e32 v5, v5, v9
	s_waitcnt lgkmcnt(0)
	v_add_f32_e32 v4, v5, v4
.LBB1_13:
	s_or_b64 exec, exec, s[6:7]
.LBB1_14:
	s_or_b64 exec, exec, s[0:1]
	v_cmp_gt_u32_e32 vcc, 4, v1
	s_barrier
	ds_write_b32 v3, v4
	s_waitcnt lgkmcnt(0)
	s_barrier
	s_and_saveexec_b64 s[0:1], vcc
	s_cbranch_execz .LBB1_20
; %bb.15:
	s_cmp_lg_u32 s2, 3
	s_cselect_b64 s[0:1], -1, 0
	v_cmp_gt_u32_e32 vcc, 2, v1
	s_or_b64 s[0:1], s[0:1], vcc
	s_and_b64 exec, exec, s[0:1]
	s_cbranch_execz .LBB1_20
; %bb.16:
	v_cmp_lt_i32_e32 vcc, 1, v2
	s_mov_b64 s[6:7], 0
                                        ; implicit-def: $vgpr4
                                        ; implicit-def: $vgpr3
	s_and_saveexec_b64 s[0:1], vcc
	s_xor_b64 s[0:1], exec, s[0:1]
	s_cbranch_execnz .LBB1_21
; %bb.17:
	s_andn2_saveexec_b64 s[0:1], s[0:1]
	s_cbranch_execnz .LBB1_33
.LBB1_18:
	s_or_b64 exec, exec, s[0:1]
	s_and_b64 exec, exec, s[6:7]
	s_cbranch_execz .LBB1_20
.LBB1_19:
	v_mov_b32_e32 v0, 0
	ds_read_b32 v0, v0
	s_lshl_b32 s0, s3, 10
	s_lshl_b32 s1, s2, 14
	s_add_i32 s0, s0, s4
	v_lshl_add_u32 v1, v1, 12, s1
	s_waitcnt lgkmcnt(0)
	v_add_f32_e32 v0, v0, v3
	v_max_f32_e32 v2, 0, v0
	v_add_u32_e32 v0, s0, v4
	s_movk_i32 s0, 0x1000
	v_add3_u32 v0, v1, v0, s0
	v_ashrrev_i32_e32 v1, 31, v0
	v_lshl_add_u64 v[0:1], v[0:1], 2, s[14:15]
	global_store_dword v[0:1], v2, off
.LBB1_20:
	s_endpgm
.LBB1_21:
	v_cmp_lt_i32_e32 vcc, 2, v2
                                        ; implicit-def: $vgpr3
	s_and_saveexec_b64 s[8:9], vcc
	s_xor_b64 s[8:9], exec, s[8:9]
	s_cbranch_execz .LBB1_28
; %bb.22:
	v_cmp_eq_u32_e32 vcc, 3, v2
	s_mov_b64 s[10:11], 0
                                        ; implicit-def: $vgpr3
	s_and_saveexec_b64 s[6:7], vcc
	s_cbranch_execz .LBB1_27
; %bb.23:
	s_cmp_lg_u32 s3, 3
	s_cbranch_scc0 .LBB1_25
; %bb.24:
	v_lshl_add_u32 v0, v0, 2, 8
	ds_read2_b32 v[2:3], v0 offset0:1 offset1:2
	ds_read2_b32 v[4:5], v0 offset0:3 offset1:4
	v_mov_b32_e32 v6, 0
	ds_read_b32 v0, v0 offset:20
	ds_read_b32 v6, v6 offset:4
	s_mov_b32 s10, 0x41000000
	s_waitcnt lgkmcnt(2)
	v_pk_mul_f32 v[4:5], v[4:5], s[10:11] op_sel_hi:[1,0]
	v_sub_f32_e32 v2, v2, v3
	v_add_f32_e32 v2, v2, v4
	v_sub_f32_e32 v2, v2, v5
	s_waitcnt lgkmcnt(1)
	v_add_f32_e32 v0, v0, v2
	s_waitcnt lgkmcnt(0)
	v_mul_f32_e32 v3, v6, v0
	s_mov_b64 s[10:11], -1
	s_branch .LBB1_26
.LBB1_25:
                                        ; implicit-def: $vgpr3
.LBB1_26:
	s_and_b64 s[10:11], s[10:11], exec
.LBB1_27:
	s_or_b64 exec, exec, s[6:7]
	s_and_b64 s[6:7], s[10:11], exec
                                        ; implicit-def: $vgpr0
.LBB1_28:
	s_or_saveexec_b64 s[8:9], s[8:9]
	v_mov_b32_e32 v4, 0x400
	s_xor_b64 exec, exec, s[8:9]
	s_cbranch_execz .LBB1_32
; %bb.29:
	s_cmp_lg_u32 s3, 3
	s_mov_b64 s[10:11], s[6:7]
                                        ; implicit-def: $vgpr3
	s_cbranch_scc0 .LBB1_31
; %bb.30:
	v_lshl_add_u32 v0, v0, 2, 8
	ds_read2_b32 v[2:3], v0 offset0:3 offset1:4
	ds_read2_b32 v[4:5], v0 offset0:1 offset1:2
	v_mov_b32_e32 v0, 0
	ds_read_b32 v0, v0 offset:4
	s_or_b64 s[10:11], s[6:7], exec
	s_waitcnt lgkmcnt(2)
	v_pk_mul_f32 v[2:3], v[2:3], 4.0 op_sel_hi:[1,0]
	s_waitcnt lgkmcnt(1)
	v_add_f32_e32 v4, v4, v5
	v_add_f32_e32 v2, v4, v2
	;; [unrolled: 1-line block ×3, first 2 shown]
	s_waitcnt lgkmcnt(0)
	v_mul_f32_e32 v3, v0, v2
.LBB1_31:
	s_andn2_b64 s[6:7], s[6:7], exec
	s_and_b64 s[10:11], s[10:11], exec
	v_mov_b32_e32 v4, 0x300
	s_or_b64 s[6:7], s[6:7], s[10:11]
.LBB1_32:
	s_or_b64 exec, exec, s[8:9]
	s_and_b64 s[6:7], s[6:7], exec
                                        ; implicit-def: $vgpr2
                                        ; implicit-def: $vgpr0
	s_andn2_saveexec_b64 s[0:1], s[0:1]
	s_cbranch_execz .LBB1_18
.LBB1_33:
	v_cmp_lt_i32_e32 vcc, 0, v2
	v_lshl_add_u32 v0, v0, 2, 8
                                        ; implicit-def: $vgpr3
	s_and_saveexec_b64 s[8:9], vcc
	s_xor_b64 s[8:9], exec, s[8:9]
	s_cbranch_execz .LBB1_35
; %bb.34:
	ds_read2_b32 v[2:3], v0 offset0:3 offset1:4
	ds_read2_b32 v[4:5], v0 offset0:1 offset1:2
	v_mov_b32_e32 v0, 0
	ds_read_b32 v0, v0 offset:4
	s_waitcnt lgkmcnt(2)
	v_pk_add_f32 v[2:3], v[2:3], v[2:3]
	s_waitcnt lgkmcnt(1)
	v_sub_f32_e32 v4, v4, v5
	v_add_f32_e32 v2, v4, v2
	v_sub_f32_e32 v2, v2, v3
	s_waitcnt lgkmcnt(0)
	v_mul_f32_e32 v3, v0, v2
                                        ; implicit-def: $vgpr0
.LBB1_35:
	s_or_saveexec_b64 s[8:9], s[8:9]
	v_mov_b32_e32 v4, 0x200
	s_xor_b64 exec, exec, s[8:9]
	s_cbranch_execz .LBB1_37
; %bb.36:
	ds_read2_b32 v[2:3], v0 offset1:1
	ds_read2_b32 v[4:5], v0 offset0:2 offset1:3
	v_mov_b32_e32 v6, 0
	ds_read_b32 v0, v0 offset:16
	ds_read_b32 v6, v6 offset:4
	s_waitcnt lgkmcnt(3)
	v_add_f32_e32 v2, v2, v3
	s_waitcnt lgkmcnt(2)
	v_add_f32_e32 v2, v2, v4
	v_add_f32_e32 v2, v2, v5
	s_waitcnt lgkmcnt(1)
	v_add_f32_e32 v0, v2, v0
	s_waitcnt lgkmcnt(0)
	v_mul_f32_e32 v3, v6, v0
	v_mov_b32_e32 v4, 0x100
.LBB1_37:
	s_or_b64 exec, exec, s[8:9]
	s_or_b64 s[6:7], s[6:7], exec
	s_or_b64 exec, exec, s[0:1]
	s_and_b64 exec, exec, s[6:7]
	s_cbranch_execnz .LBB1_19
	s_branch .LBB1_20
	.section	.rodata,"a",@progbits
	.p2align	6, 0x0
	.amdhsa_kernel _Z24kernel_256_winograd_AtIAPKfS0_S0_Pf
		.amdhsa_group_segment_fixed_size 8
		.amdhsa_private_segment_fixed_size 0
		.amdhsa_kernarg_size 32
		.amdhsa_user_sgpr_count 2
		.amdhsa_user_sgpr_dispatch_ptr 0
		.amdhsa_user_sgpr_queue_ptr 0
		.amdhsa_user_sgpr_kernarg_segment_ptr 1
		.amdhsa_user_sgpr_dispatch_id 0
		.amdhsa_user_sgpr_kernarg_preload_length 0
		.amdhsa_user_sgpr_kernarg_preload_offset 0
		.amdhsa_user_sgpr_private_segment_size 0
		.amdhsa_uses_dynamic_stack 0
		.amdhsa_enable_private_segment 0
		.amdhsa_system_sgpr_workgroup_id_x 1
		.amdhsa_system_sgpr_workgroup_id_y 1
		.amdhsa_system_sgpr_workgroup_id_z 1
		.amdhsa_system_sgpr_workgroup_info 0
		.amdhsa_system_vgpr_workitem_id 1
		.amdhsa_next_free_vgpr 10
		.amdhsa_next_free_sgpr 16
		.amdhsa_accum_offset 12
		.amdhsa_reserve_vcc 1
		.amdhsa_float_round_mode_32 0
		.amdhsa_float_round_mode_16_64 0
		.amdhsa_float_denorm_mode_32 3
		.amdhsa_float_denorm_mode_16_64 3
		.amdhsa_dx10_clamp 1
		.amdhsa_ieee_mode 1
		.amdhsa_fp16_overflow 0
		.amdhsa_tg_split 0
		.amdhsa_exception_fp_ieee_invalid_op 0
		.amdhsa_exception_fp_denorm_src 0
		.amdhsa_exception_fp_ieee_div_zero 0
		.amdhsa_exception_fp_ieee_overflow 0
		.amdhsa_exception_fp_ieee_underflow 0
		.amdhsa_exception_fp_ieee_inexact 0
		.amdhsa_exception_int_div_zero 0
	.end_amdhsa_kernel
	.text
.Lfunc_end1:
	.size	_Z24kernel_256_winograd_AtIAPKfS0_S0_Pf, .Lfunc_end1-_Z24kernel_256_winograd_AtIAPKfS0_S0_Pf
                                        ; -- End function
	.set _Z24kernel_256_winograd_AtIAPKfS0_S0_Pf.num_vgpr, 10
	.set _Z24kernel_256_winograd_AtIAPKfS0_S0_Pf.num_agpr, 0
	.set _Z24kernel_256_winograd_AtIAPKfS0_S0_Pf.numbered_sgpr, 16
	.set _Z24kernel_256_winograd_AtIAPKfS0_S0_Pf.num_named_barrier, 0
	.set _Z24kernel_256_winograd_AtIAPKfS0_S0_Pf.private_seg_size, 0
	.set _Z24kernel_256_winograd_AtIAPKfS0_S0_Pf.uses_vcc, 1
	.set _Z24kernel_256_winograd_AtIAPKfS0_S0_Pf.uses_flat_scratch, 0
	.set _Z24kernel_256_winograd_AtIAPKfS0_S0_Pf.has_dyn_sized_stack, 0
	.set _Z24kernel_256_winograd_AtIAPKfS0_S0_Pf.has_recursion, 0
	.set _Z24kernel_256_winograd_AtIAPKfS0_S0_Pf.has_indirect_call, 0
	.section	.AMDGPU.csdata,"",@progbits
; Kernel info:
; codeLenInByte = 1212
; TotalNumSgprs: 22
; NumVgprs: 10
; NumAgprs: 0
; TotalNumVgprs: 10
; ScratchSize: 0
; MemoryBound: 0
; FloatMode: 240
; IeeeMode: 1
; LDSByteSize: 8 bytes/workgroup (compile time only)
; SGPRBlocks: 2
; VGPRBlocks: 1
; NumSGPRsForWavesPerEU: 22
; NumVGPRsForWavesPerEU: 10
; AccumOffset: 12
; Occupancy: 8
; WaveLimiterHint : 0
; COMPUTE_PGM_RSRC2:SCRATCH_EN: 0
; COMPUTE_PGM_RSRC2:USER_SGPR: 2
; COMPUTE_PGM_RSRC2:TRAP_HANDLER: 0
; COMPUTE_PGM_RSRC2:TGID_X_EN: 1
; COMPUTE_PGM_RSRC2:TGID_Y_EN: 1
; COMPUTE_PGM_RSRC2:TGID_Z_EN: 1
; COMPUTE_PGM_RSRC2:TIDIG_COMP_CNT: 1
; COMPUTE_PGM_RSRC3_GFX90A:ACCUM_OFFSET: 2
; COMPUTE_PGM_RSRC3_GFX90A:TG_SPLIT: 0
	.text
	.protected	_Z27kernel_256_OuterProduct_256PKfS0_Pf ; -- Begin function _Z27kernel_256_OuterProduct_256PKfS0_Pf
	.globl	_Z27kernel_256_OuterProduct_256PKfS0_Pf
	.p2align	8
	.type	_Z27kernel_256_OuterProduct_256PKfS0_Pf,@function
_Z27kernel_256_OuterProduct_256PKfS0_Pf: ; @_Z27kernel_256_OuterProduct_256PKfS0_Pf
; %bb.0:
	s_load_dwordx4 s[4:7], s[0:1], 0x0
	s_load_dwordx2 s[8:9], s[0:1], 0x10
	v_and_b32_e32 v6, 0x3ff, v0
	v_bfe_u32 v7, v0, 10, 10
	s_lshl_b32 s0, s2, 12
	s_lshl_b32 s1, s3, 11
	v_lshl_add_u32 v8, v7, 8, v6
	s_add_i32 s0, s0, s1
	v_add_u32_e32 v0, s0, v8
	v_ashrrev_i32_e32 v1, 31, v0
	s_waitcnt lgkmcnt(0)
	v_lshl_add_u64 v[2:3], v[0:1], 2, s[4:5]
	s_movk_i32 s0, 0x1000
	v_add_co_u32_e32 v4, vcc, s0, v2
	s_mov_b32 s0, 0
	s_nop 0
	v_addc_co_u32_e32 v5, vcc, 0, v3, vcc
	global_load_dword v9, v[2:3], off
	global_load_dword v10, v[4:5], off
	v_mov_b32_e32 v3, 0
	v_lshl_add_u32 v4, v6, 2, 0
	v_lshl_add_u32 v2, s2, 16, v8
	;; [unrolled: 1-line block ×4, first 2 shown]
	ds_write2st64_b32 v5, v3, v3 offset0:160 offset1:176
	s_waitcnt vmcnt(0)
	ds_write2st64_b32 v5, v9, v10 offset1:16
.LBB2_1:                                ; =>This Inner Loop Header: Depth=1
	v_ashrrev_i32_e32 v3, 31, v2
	v_lshl_add_u64 v[8:9], v[2:3], 2, s[6:7]
	v_add_co_u32_e32 v10, vcc, 0x1000, v8
	global_load_dword v16, v[8:9], off
	s_nop 0
	v_addc_co_u32_e32 v11, vcc, 0, v9, vcc
	v_add_co_u32_e32 v12, vcc, 0x2000, v8
	global_load_dword v17, v[10:11], off
	s_nop 0
	v_addc_co_u32_e32 v13, vcc, 0, v9, vcc
	v_add_co_u32_e32 v10, vcc, 0x3000, v8
	v_add_u32_e32 v7, s0, v6
	s_nop 0
	v_addc_co_u32_e32 v11, vcc, 0, v9, vcc
	v_add_co_u32_e32 v14, vcc, 0x4000, v8
	global_load_dword v18, v[12:13], off
	global_load_dword v19, v[10:11], off
	v_addc_co_u32_e32 v15, vcc, 0, v9, vcc
	v_add_co_u32_e32 v10, vcc, 0x5000, v8
	v_add_u32_e32 v3, 0x1000, v7
	s_nop 0
	v_addc_co_u32_e32 v11, vcc, 0, v9, vcc
	v_add_co_u32_e32 v12, vcc, 0x6000, v8
	global_load_dword v20, v[14:15], off
	global_load_dword v21, v[10:11], off
	v_addc_co_u32_e32 v13, vcc, 0, v9, vcc
	v_add_co_u32_e32 v8, vcc, 0x7000, v8
	v_add_u32_e32 v26, 0x1008, v7
	s_nop 0
	v_addc_co_u32_e32 v9, vcc, 0, v9, vcc
	global_load_dword v10, v[12:13], off
	global_load_dword v11, v[8:9], off
	v_add_u32_e32 v28, 0x1010, v7
	v_add_u32_e32 v30, 0x1018, v7
	;; [unrolled: 1-line block ×14, first 2 shown]
	s_addk_i32 s0, 0x80
	v_add_u32_e32 v2, 0x2000, v2
	s_cmpk_eq_i32 s0, 0x400
	s_waitcnt vmcnt(6)
	ds_write2st64_b32 v5, v16, v17 offset0:32 offset1:48
	s_waitcnt vmcnt(4)
	ds_write2st64_b32 v5, v18, v19 offset0:64 offset1:80
	s_waitcnt vmcnt(2)
	ds_write2st64_b32 v5, v20, v21 offset0:96 offset1:112
	s_waitcnt vmcnt(0)
	ds_write2st64_b32 v5, v10, v11 offset0:128 offset1:144
	s_waitcnt lgkmcnt(0)
	s_barrier
	ds_read2st64_b32 v[8:9], v4 offset0:32 offset1:36
	ds_read2st64_b32 v[10:11], v4 offset0:40 offset1:44
	;; [unrolled: 1-line block ×3, first 2 shown]
	ds_read2_b32 v[14:15], v7 offset1:1
	ds_read2_b32 v[16:17], v7 offset0:2 offset1:3
	ds_read2_b32 v[18:19], v7 offset0:4 offset1:5
	ds_read2_b32 v[20:21], v7 offset0:6 offset1:7
	ds_read2st64_b32 v[22:23], v4 offset0:56 offset1:60
	ds_read2_b32 v[24:25], v3 offset1:1
	ds_read2_b32 v[26:27], v26 offset1:1
	ds_read2_b32 v[28:29], v28 offset1:1
	ds_read2_b32 v[30:31], v30 offset1:1
	ds_read2st64_b32 v[32:33], v4 offset0:64 offset1:68
	ds_read2st64_b32 v[34:35], v4 offset0:72 offset1:76
	ds_read2_b32 v[36:37], v36 offset1:1
	ds_read2_b32 v[38:39], v38 offset1:1
	ds_read2st64_b32 v[40:41], v4 offset0:80 offset1:84
	ds_read2_b32 v[42:43], v7 offset0:8 offset1:9
	ds_read2_b32 v[44:45], v7 offset0:10 offset1:11
	;; [unrolled: 1-line block ×4, first 2 shown]
	s_waitcnt lgkmcnt(14)
	v_fma_f32 v3, v14, v8, 0
	s_waitcnt lgkmcnt(12)
	v_fma_f32 v61, v8, v24, 0
	v_fmac_f32_e32 v3, v15, v9
	v_fmac_f32_e32 v61, v9, v25
	v_fmac_f32_e32 v3, v16, v10
	s_waitcnt lgkmcnt(11)
	v_fmac_f32_e32 v61, v10, v26
	v_fmac_f32_e32 v3, v17, v11
	v_fmac_f32_e32 v61, v11, v27
	v_fmac_f32_e32 v3, v18, v12
	s_waitcnt lgkmcnt(10)
	v_fmac_f32_e32 v61, v12, v28
	;; [unrolled: 5-line block ×3, first 2 shown]
	v_fmac_f32_e32 v3, v21, v23
	v_fmac_f32_e32 v61, v23, v31
	s_waitcnt lgkmcnt(3)
	v_fmac_f32_e32 v3, v42, v32
	v_fmac_f32_e32 v61, v32, v36
	ds_read2st64_b32 v[14:15], v4 offset0:88 offset1:92
	ds_read2_b32 v[8:9], v50 offset1:1
	ds_read2_b32 v[24:25], v51 offset1:1
	ds_read2_b32 v[50:51], v7 offset0:16 offset1:17
	v_fmac_f32_e32 v3, v43, v33
	v_fmac_f32_e32 v61, v33, v37
	s_waitcnt lgkmcnt(6)
	v_fmac_f32_e32 v3, v44, v34
	v_fmac_f32_e32 v61, v34, v38
	ds_read2st64_b32 v[16:17], v4 offset0:96 offset1:100
	v_fmac_f32_e32 v3, v45, v35
	v_fmac_f32_e32 v61, v35, v39
	s_waitcnt lgkmcnt(6)
	v_fmac_f32_e32 v3, v46, v40
	s_waitcnt lgkmcnt(3)
	v_fmac_f32_e32 v61, v40, v8
	ds_read2_b32 v[10:11], v7 offset0:18 offset1:19
	ds_read2st64_b32 v[26:27], v4 offset0:104 offset1:108
	v_fmac_f32_e32 v3, v47, v41
	v_fmac_f32_e32 v61, v41, v9
	ds_read2st64_b32 v[18:19], v4 offset0:112 offset1:116
	ds_read2_b32 v[12:13], v7 offset0:20 offset1:21
	ds_read2_b32 v[28:29], v7 offset0:22 offset1:23
	ds_read2st64_b32 v[20:21], v4 offset0:120 offset1:124
	ds_read2_b32 v[22:23], v52 offset1:1
	ds_read2_b32 v[30:31], v53 offset1:1
	;; [unrolled: 1-line block ×4, first 2 shown]
	v_fmac_f32_e32 v3, v48, v14
	s_waitcnt lgkmcnt(12)
	v_fmac_f32_e32 v61, v14, v24
	v_fmac_f32_e32 v3, v49, v15
	v_fmac_f32_e32 v61, v15, v25
	s_waitcnt lgkmcnt(10)
	v_fmac_f32_e32 v3, v50, v16
	s_waitcnt lgkmcnt(3)
	v_fmac_f32_e32 v61, v16, v22
	v_fmac_f32_e32 v3, v51, v17
	;; [unrolled: 1-line block ×4, first 2 shown]
	s_waitcnt lgkmcnt(2)
	v_fmac_f32_e32 v61, v26, v30
	ds_read2st64_b32 v[42:43], v4 offset0:128 offset1:132
	v_fmac_f32_e32 v3, v11, v27
	v_fmac_f32_e32 v61, v27, v31
	ds_read2_b32 v[32:33], v7 offset0:24 offset1:25
	ds_read2_b32 v[36:37], v7 offset0:26 offset1:27
	v_fmac_f32_e32 v3, v12, v18
	s_waitcnt lgkmcnt(4)
	v_fmac_f32_e32 v61, v18, v52
	ds_read2st64_b32 v[44:45], v4 offset0:136 offset1:140
	ds_read2_b32 v[34:35], v56 offset1:1
	ds_read2_b32 v[38:39], v57 offset1:1
	ds_read2st64_b32 v[56:57], v4 offset0:144 offset1:148
	v_fmac_f32_e32 v3, v13, v19
	v_fmac_f32_e32 v61, v19, v53
	;; [unrolled: 1-line block ×3, first 2 shown]
	s_waitcnt lgkmcnt(7)
	v_fmac_f32_e32 v61, v20, v54
	ds_read2_b32 v[46:47], v58 offset1:1
	v_fmac_f32_e32 v3, v29, v21
	v_fmac_f32_e32 v61, v21, v55
	s_waitcnt lgkmcnt(6)
	v_fmac_f32_e32 v3, v32, v42
	s_waitcnt lgkmcnt(3)
	v_fmac_f32_e32 v61, v42, v34
	ds_read2_b32 v[8:9], v7 offset0:28 offset1:29
	ds_read2_b32 v[40:41], v7 offset0:30 offset1:31
	ds_read2st64_b32 v[58:59], v4 offset0:152 offset1:156
	ds_read2_b32 v[48:49], v60 offset1:1
	v_fmac_f32_e32 v3, v33, v43
	v_fmac_f32_e32 v61, v43, v35
	;; [unrolled: 1-line block ×3, first 2 shown]
	s_waitcnt lgkmcnt(6)
	v_fmac_f32_e32 v61, v44, v38
	ds_read2st64_b32 v[14:15], v5 offset0:160 offset1:176
	v_fmac_f32_e32 v3, v37, v45
	v_fmac_f32_e32 v61, v45, v39
	s_waitcnt lgkmcnt(4)
	v_fmac_f32_e32 v3, v8, v56
	v_fmac_f32_e32 v61, v56, v46
	;; [unrolled: 1-line block ×4, first 2 shown]
	s_waitcnt lgkmcnt(2)
	v_fmac_f32_e32 v3, v40, v58
	s_waitcnt lgkmcnt(1)
	v_fmac_f32_e32 v61, v58, v48
	v_fmac_f32_e32 v3, v41, v59
	;; [unrolled: 1-line block ×3, first 2 shown]
	s_waitcnt lgkmcnt(0)
	v_add_f32_e32 v3, v3, v14
	v_add_f32_e32 v7, v61, v15
	ds_write2st64_b32 v5, v3, v7 offset0:160 offset1:176
	s_waitcnt lgkmcnt(0)
	s_barrier
	s_cbranch_scc0 .LBB2_1
; %bb.2:
	ds_read2st64_b32 v[2:3], v5 offset0:160 offset1:176
	v_lshl_add_u64 v[0:1], v[0:1], 2, s[8:9]
	v_add_co_u32_e32 v4, vcc, 0x1000, v0
	s_waitcnt lgkmcnt(0)
	global_store_dword v[0:1], v2, off
	v_addc_co_u32_e32 v5, vcc, 0, v1, vcc
	global_store_dword v[4:5], v3, off
	s_endpgm
	.section	.rodata,"a",@progbits
	.p2align	6, 0x0
	.amdhsa_kernel _Z27kernel_256_OuterProduct_256PKfS0_Pf
		.amdhsa_group_segment_fixed_size 0
		.amdhsa_private_segment_fixed_size 0
		.amdhsa_kernarg_size 24
		.amdhsa_user_sgpr_count 2
		.amdhsa_user_sgpr_dispatch_ptr 0
		.amdhsa_user_sgpr_queue_ptr 0
		.amdhsa_user_sgpr_kernarg_segment_ptr 1
		.amdhsa_user_sgpr_dispatch_id 0
		.amdhsa_user_sgpr_kernarg_preload_length 0
		.amdhsa_user_sgpr_kernarg_preload_offset 0
		.amdhsa_user_sgpr_private_segment_size 0
		.amdhsa_uses_dynamic_stack 0
		.amdhsa_enable_private_segment 0
		.amdhsa_system_sgpr_workgroup_id_x 1
		.amdhsa_system_sgpr_workgroup_id_y 1
		.amdhsa_system_sgpr_workgroup_id_z 0
		.amdhsa_system_sgpr_workgroup_info 0
		.amdhsa_system_vgpr_workitem_id 1
		.amdhsa_next_free_vgpr 62
		.amdhsa_next_free_sgpr 10
		.amdhsa_accum_offset 64
		.amdhsa_reserve_vcc 1
		.amdhsa_float_round_mode_32 0
		.amdhsa_float_round_mode_16_64 0
		.amdhsa_float_denorm_mode_32 3
		.amdhsa_float_denorm_mode_16_64 3
		.amdhsa_dx10_clamp 1
		.amdhsa_ieee_mode 1
		.amdhsa_fp16_overflow 0
		.amdhsa_tg_split 0
		.amdhsa_exception_fp_ieee_invalid_op 0
		.amdhsa_exception_fp_denorm_src 0
		.amdhsa_exception_fp_ieee_div_zero 0
		.amdhsa_exception_fp_ieee_overflow 0
		.amdhsa_exception_fp_ieee_underflow 0
		.amdhsa_exception_fp_ieee_inexact 0
		.amdhsa_exception_int_div_zero 0
	.end_amdhsa_kernel
	.text
.Lfunc_end2:
	.size	_Z27kernel_256_OuterProduct_256PKfS0_Pf, .Lfunc_end2-_Z27kernel_256_OuterProduct_256PKfS0_Pf
                                        ; -- End function
	.set _Z27kernel_256_OuterProduct_256PKfS0_Pf.num_vgpr, 62
	.set _Z27kernel_256_OuterProduct_256PKfS0_Pf.num_agpr, 0
	.set _Z27kernel_256_OuterProduct_256PKfS0_Pf.numbered_sgpr, 10
	.set _Z27kernel_256_OuterProduct_256PKfS0_Pf.num_named_barrier, 0
	.set _Z27kernel_256_OuterProduct_256PKfS0_Pf.private_seg_size, 0
	.set _Z27kernel_256_OuterProduct_256PKfS0_Pf.uses_vcc, 1
	.set _Z27kernel_256_OuterProduct_256PKfS0_Pf.uses_flat_scratch, 0
	.set _Z27kernel_256_OuterProduct_256PKfS0_Pf.has_dyn_sized_stack, 0
	.set _Z27kernel_256_OuterProduct_256PKfS0_Pf.has_recursion, 0
	.set _Z27kernel_256_OuterProduct_256PKfS0_Pf.has_indirect_call, 0
	.section	.AMDGPU.csdata,"",@progbits
; Kernel info:
; codeLenInByte = 1372
; TotalNumSgprs: 16
; NumVgprs: 62
; NumAgprs: 0
; TotalNumVgprs: 62
; ScratchSize: 0
; MemoryBound: 0
; FloatMode: 240
; IeeeMode: 1
; LDSByteSize: 0 bytes/workgroup (compile time only)
; SGPRBlocks: 1
; VGPRBlocks: 7
; NumSGPRsForWavesPerEU: 16
; NumVGPRsForWavesPerEU: 62
; AccumOffset: 64
; Occupancy: 8
; WaveLimiterHint : 1
; COMPUTE_PGM_RSRC2:SCRATCH_EN: 0
; COMPUTE_PGM_RSRC2:USER_SGPR: 2
; COMPUTE_PGM_RSRC2:TRAP_HANDLER: 0
; COMPUTE_PGM_RSRC2:TGID_X_EN: 1
; COMPUTE_PGM_RSRC2:TGID_Y_EN: 1
; COMPUTE_PGM_RSRC2:TGID_Z_EN: 0
; COMPUTE_PGM_RSRC2:TIDIG_COMP_CNT: 1
; COMPUTE_PGM_RSRC3_GFX90A:ACCUM_OFFSET: 15
; COMPUTE_PGM_RSRC3_GFX90A:TG_SPLIT: 0
	.text
	.p2alignl 6, 3212836864
	.fill 256, 4, 3212836864
	.section	.AMDGPU.gpr_maximums,"",@progbits
	.set amdgpu.max_num_vgpr, 0
	.set amdgpu.max_num_agpr, 0
	.set amdgpu.max_num_sgpr, 0
	.text
	.type	__hip_cuid_500049a90e7c0e3c,@object ; @__hip_cuid_500049a90e7c0e3c
	.section	.bss,"aw",@nobits
	.globl	__hip_cuid_500049a90e7c0e3c
__hip_cuid_500049a90e7c0e3c:
	.byte	0                               ; 0x0
	.size	__hip_cuid_500049a90e7c0e3c, 1

	.ident	"AMD clang version 22.0.0git (https://github.com/RadeonOpenCompute/llvm-project roc-7.2.4 26084 f58b06dce1f9c15707c5f808fd002e18c2accf7e)"
	.section	".note.GNU-stack","",@progbits
	.addrsig
	.addrsig_sym __hip_cuid_500049a90e7c0e3c
	.amdgpu_metadata
---
amdhsa.kernels:
  - .agpr_count:     0
    .args:
      - .actual_access:  read_only
        .address_space:  global
        .offset:         0
        .size:           8
        .value_kind:     global_buffer
      - .actual_access:  write_only
        .address_space:  global
        .offset:         8
        .size:           8
        .value_kind:     global_buffer
    .group_segment_fixed_size: 0
    .kernarg_segment_align: 8
    .kernarg_segment_size: 16
    .language:       OpenCL C
    .language_version:
      - 2
      - 0
    .max_flat_workgroup_size: 1024
    .name:           _Z24kernel_256_winograd_BtdBPKfPf
    .private_segment_fixed_size: 0
    .sgpr_count:     24
    .sgpr_spill_count: 0
    .symbol:         _Z24kernel_256_winograd_BtdBPKfPf.kd
    .uniform_work_group_size: 1
    .uses_dynamic_stack: false
    .vgpr_count:     20
    .vgpr_spill_count: 0
    .wavefront_size: 64
  - .agpr_count:     0
    .args:
      - .actual_access:  read_only
        .address_space:  global
        .offset:         0
        .size:           8
        .value_kind:     global_buffer
      - .actual_access:  read_only
        .address_space:  global
        .offset:         8
        .size:           8
        .value_kind:     global_buffer
      - .actual_access:  read_only
        .address_space:  global
        .offset:         16
        .size:           8
        .value_kind:     global_buffer
      - .actual_access:  write_only
        .address_space:  global
        .offset:         24
        .size:           8
        .value_kind:     global_buffer
    .group_segment_fixed_size: 8
    .kernarg_segment_align: 8
    .kernarg_segment_size: 32
    .language:       OpenCL C
    .language_version:
      - 2
      - 0
    .max_flat_workgroup_size: 1024
    .name:           _Z24kernel_256_winograd_AtIAPKfS0_S0_Pf
    .private_segment_fixed_size: 0
    .sgpr_count:     22
    .sgpr_spill_count: 0
    .symbol:         _Z24kernel_256_winograd_AtIAPKfS0_S0_Pf.kd
    .uniform_work_group_size: 1
    .uses_dynamic_stack: false
    .vgpr_count:     10
    .vgpr_spill_count: 0
    .wavefront_size: 64
  - .agpr_count:     0
    .args:
      - .actual_access:  read_only
        .address_space:  global
        .offset:         0
        .size:           8
        .value_kind:     global_buffer
      - .actual_access:  read_only
        .address_space:  global
        .offset:         8
        .size:           8
        .value_kind:     global_buffer
      - .actual_access:  write_only
        .address_space:  global
        .offset:         16
        .size:           8
        .value_kind:     global_buffer
    .group_segment_fixed_size: 0
    .kernarg_segment_align: 8
    .kernarg_segment_size: 24
    .language:       OpenCL C
    .language_version:
      - 2
      - 0
    .max_flat_workgroup_size: 1024
    .name:           _Z27kernel_256_OuterProduct_256PKfS0_Pf
    .private_segment_fixed_size: 0
    .sgpr_count:     16
    .sgpr_spill_count: 0
    .symbol:         _Z27kernel_256_OuterProduct_256PKfS0_Pf.kd
    .uniform_work_group_size: 1
    .uses_dynamic_stack: false
    .vgpr_count:     62
    .vgpr_spill_count: 0
    .wavefront_size: 64
amdhsa.target:   amdgcn-amd-amdhsa--gfx950
amdhsa.version:
  - 1
  - 2
...

	.end_amdgpu_metadata
